;; amdgpu-corpus repo=zjin-lcf/HeCBench kind=compiled arch=gfx1250 opt=O3
	.amdgcn_target "amdgcn-amd-amdhsa--gfx1250"
	.amdhsa_code_object_version 6
	.text
	.protected	_Z9maxpool3dPKfPfiiiiiiiii ; -- Begin function _Z9maxpool3dPKfPfiiiiiiiii
	.globl	_Z9maxpool3dPKfPfiiiiiiiii
	.p2align	8
	.type	_Z9maxpool3dPKfPfiiiiiiiii,@function
_Z9maxpool3dPKfPfiiiiiiiii:             ; @_Z9maxpool3dPKfPfiiiiiiiii
; %bb.0:
	s_clause 0x1
	s_load_b64 s[2:3], s[0:1], 0x44
	s_load_b32 s12, s[0:1], 0x30
	s_bfe_u32 s17, ttmp6, 0x40010
	s_bfe_u32 s14, ttmp6, 0x40014
	s_and_b32 s16, ttmp7, 0xffff
	s_bfe_u32 s20, ttmp6, 0x4000c
	s_add_co_i32 s17, s17, 1
	s_lshr_b32 s13, ttmp7, 16
	s_bfe_u32 s18, ttmp6, 0x40004
	s_load_b256 s[4:11], s[0:1], 0x10
	s_add_co_i32 s14, s14, 1
	s_add_co_i32 s20, s20, 1
	s_mul_i32 s17, s16, s17
	s_bfe_u32 s15, ttmp6, 0x40008
	s_and_b32 s19, ttmp6, 15
	s_mul_i32 s14, s13, s14
	s_add_co_i32 s18, s18, s17
	s_mul_i32 s17, ttmp9, s20
	s_getreg_b32 s20, hwreg(HW_REG_IB_STS2, 6, 4)
	s_add_co_i32 s15, s15, s14
	s_wait_kmcnt 0x0
	s_and_b32 s3, s3, 0xffff
	s_lshr_b32 s14, s2, 16
	s_and_b32 s2, s2, 0xffff
	s_add_co_i32 s19, s19, s17
	v_and_b32_e32 v1, 0x3ff, v0
	v_bfe_u32 v2, v0, 10, 10
	s_cmp_eq_u32 s20, 0
	v_bfe_u32 v0, v0, 20, 10
	s_cselect_b32 s17, ttmp9, s19
	s_cselect_b32 s16, s16, s18
	v_mad_u32 v4, s17, s2, v1
	v_mad_u32 v5, s16, s14, v2
	s_cselect_b32 s2, s13, s15
	s_delay_alu instid0(SALU_CYCLE_1) | instskip(NEXT) | instid1(VALU_DEP_3)
	v_mad_u32 v6, s2, s3, v0
	v_cmp_gt_i32_e32 vcc_lo, s11, v4
	s_delay_alu instid0(VALU_DEP_3) | instskip(NEXT) | instid1(VALU_DEP_3)
	v_cmp_gt_i32_e64 s2, s12, v5
	v_cmp_gt_i32_e64 s3, s8, v6
	s_and_b32 s2, vcc_lo, s2
	s_delay_alu instid0(SALU_CYCLE_1) | instskip(NEXT) | instid1(SALU_CYCLE_1)
	s_and_b32 s2, s2, s3
	s_and_saveexec_b32 s3, s2
	s_cbranch_execz .LBB0_16
; %bb.1:
	s_load_b128 s[0:3], s[0:1], 0x0
	s_cmp_lt_i32 s7, 1
	s_cbranch_scc1 .LBB0_14
; %bb.2:
	v_mul_lo_u32 v0, v5, s5
	v_mul_lo_u32 v1, v4, s4
	s_cmp_gt_i32 s6, 0
	v_mov_b32_e32 v7, 0
	s_cselect_b32 s4, -1, 0
	s_cmp_lg_u32 s6, 1
	s_cselect_b32 s5, -1, 0
	s_and_b32 s8, s6, 0x7ffffffe
	s_delay_alu instid0(SALU_CYCLE_1) | instskip(NEXT) | instid1(VALU_DEP_3)
	s_cmp_lg_u32 s6, s8
	v_mad_u32 v0, v6, s10, v0
	s_mov_b32 s10, 0
	s_cselect_b32 s13, -1, 0
	s_add_co_i32 s14, s8, -2
	s_delay_alu instid0(VALU_DEP_1)
	v_mad_u32 v0, s9, v0, v1
	s_branch .LBB0_6
.LBB0_3:                                ;   in Loop: Header=BB0_6 Depth=1
	s_or_b32 exec_lo, exec_lo, s16
.LBB0_4:                                ;   in Loop: Header=BB0_6 Depth=1
	s_delay_alu instid0(SALU_CYCLE_1)
	s_or_b32 exec_lo, exec_lo, s15
.LBB0_5:                                ;   in Loop: Header=BB0_6 Depth=1
	v_add_nc_u32_e32 v0, s9, v0
	s_add_co_i32 s10, s10, 1
	s_delay_alu instid0(SALU_CYCLE_1)
	s_cmp_eq_u32 s10, s7
	s_cbranch_scc1 .LBB0_15
.LBB0_6:                                ; =>This Loop Header: Depth=1
                                        ;     Child Loop BB0_9 Depth 2
                                        ;     Child Loop BB0_13 Depth 2
	s_delay_alu instid0(VALU_DEP_1)
	v_ashrrev_i32_e32 v1, 31, v0
	s_and_not1_b32 vcc_lo, exec_lo, s4
	s_cbranch_vccnz .LBB0_5
; %bb.7:                                ;   in Loop: Header=BB0_6 Depth=1
	s_and_not1_b32 vcc_lo, exec_lo, s5
	s_cbranch_vccnz .LBB0_11
; %bb.8:                                ;   in Loop: Header=BB0_6 Depth=1
	v_mov_b32_e32 v9, v7
	s_mov_b32 s16, 0
	s_mov_b32 s17, 0
                                        ; implicit-def: $sgpr15
.LBB0_9:                                ;   Parent Loop BB0_6 Depth=1
                                        ; =>  This Inner Loop Header: Depth=2
	s_delay_alu instid0(SALU_CYCLE_1) | instskip(SKIP_2) | instid1(VALU_DEP_1)
	v_add_nc_u32_e32 v2, s17, v0
	s_add_co_i32 s18, s17, 2
	s_cmp_eq_u32 s14, s17
	v_ashrrev_i32_e32 v3, 31, v2
	s_wait_kmcnt 0x0
	s_delay_alu instid0(VALU_DEP_1)
	v_lshl_add_u64 v[2:3], v[2:3], 2, s[0:1]
	global_load_b64 v[10:11], v[2:3], off
	s_wait_xcnt 0x0
	v_dual_mov_b32 v3, v9 :: v_dual_mov_b32 v2, v7
	v_mov_b32_e32 v8, s17
	s_cselect_b32 s17, -1, 0
	s_delay_alu instid0(VALU_DEP_2)
	v_dual_max_num_f32 v7, v3, v3 :: v_dual_max_num_f32 v13, v2, v2
	s_wait_loadcnt 0x0
	v_cmp_u_f32_e32 vcc_lo, v11, v11
	v_max_num_f32_e32 v11, v11, v11
	v_cndmask_b32_e64 v9, 0, 1, vcc_lo
	v_cmp_u_f32_e32 vcc_lo, v10, v10
	v_max_num_f32_e32 v10, v10, v10
	s_delay_alu instid0(VALU_DEP_3) | instskip(SKIP_1) | instid1(VALU_DEP_1)
	v_lshlrev_b16 v9, 1, v9
	v_cndmask_b32_e64 v12, 0, 1, vcc_lo
	v_bitop3_b16 v9, v12, 3, v9 bitop3:0xc8
	s_delay_alu instid0(VALU_DEP_1) | instskip(SKIP_2) | instid1(SALU_CYCLE_1)
	v_cmp_ne_u16_e32 vcc_lo, 0, v9
	v_dual_max_num_f32 v9, v7, v11 :: v_dual_max_num_f32 v7, v13, v10
	s_or_b32 s17, vcc_lo, s17
	s_and_b32 s17, exec_lo, s17
	s_delay_alu instid0(SALU_CYCLE_1)
	s_or_b32 s16, s17, s16
	s_and_not1_b32 s15, s15, exec_lo
	s_and_b32 s19, vcc_lo, exec_lo
	s_mov_b32 s17, s18
	s_or_b32 s15, s15, s19
	s_and_not1_b32 exec_lo, exec_lo, s16
	s_cbranch_execnz .LBB0_9
; %bb.10:                               ;   in Loop: Header=BB0_6 Depth=1
	s_or_b32 exec_lo, exec_lo, s16
	v_dual_cndmask_b32 v3, v9, v3, s15 :: v_dual_cndmask_b32 v2, v7, v2, s15
	s_or_b32 s16, s13, s15
	s_delay_alu instid0(VALU_DEP_1) | instskip(NEXT) | instid1(VALU_DEP_1)
	v_dual_max_num_f32 v3, v3, v3 :: v_dual_max_num_f32 v7, v2, v2
	v_dual_cndmask_b32 v2, s8, v8, s15 :: v_dual_max_num_f32 v7, v7, v3
	s_and_saveexec_b32 s15, s16
	s_cbranch_execz .LBB0_4
	s_branch .LBB0_12
.LBB0_11:                               ;   in Loop: Header=BB0_6 Depth=1
	v_mov_b32_e32 v2, 0
	s_mov_b32 s16, -1
	s_delay_alu instid0(SALU_CYCLE_1)
	s_and_saveexec_b32 s15, s16
	s_cbranch_execz .LBB0_4
.LBB0_12:                               ;   in Loop: Header=BB0_6 Depth=1
	s_delay_alu instid0(VALU_DEP_1) | instskip(SKIP_1) | instid1(VALU_DEP_1)
	v_ashrrev_i32_e32 v3, 31, v2
	s_mov_b32 s16, 0
	v_add_nc_u64_e32 v[8:9], v[2:3], v[0:1]
	v_sub_nc_u32_e32 v1, s6, v2
	s_wait_kmcnt 0x0
	s_delay_alu instid0(VALU_DEP_2)
	v_lshl_add_u64 v[2:3], v[8:9], 2, s[0:1]
.LBB0_13:                               ;   Parent Loop BB0_6 Depth=1
                                        ; =>  This Inner Loop Header: Depth=2
	global_load_b32 v8, v[2:3], off
	v_dual_add_nc_u32 v1, -1, v1 :: v_dual_max_num_f32 v7, v7, v7
	s_wait_xcnt 0x0
	v_add_nc_u64_e32 v[2:3], 4, v[2:3]
	s_delay_alu instid0(VALU_DEP_2) | instskip(SKIP_3) | instid1(VALU_DEP_1)
	v_cmp_eq_u32_e32 vcc_lo, 0, v1
	s_or_b32 s16, vcc_lo, s16
	s_wait_loadcnt 0x0
	v_max_num_f32_e32 v8, v8, v8
	v_max_num_f32_e32 v7, v7, v8
	s_and_not1_b32 exec_lo, exec_lo, s16
	s_cbranch_execnz .LBB0_13
	s_branch .LBB0_3
.LBB0_14:
	v_mov_b32_e32 v7, 0
.LBB0_15:
	v_mad_u32 v0, v6, s12, v5
	s_delay_alu instid0(VALU_DEP_1)
	v_mad_u32 v0, v0, s11, v4
	s_wait_kmcnt 0x0
	global_store_b32 v0, v7, s[2:3] scale_offset
.LBB0_16:
	s_endpgm
	.section	.rodata,"a",@progbits
	.p2align	6, 0x0
	.amdhsa_kernel _Z9maxpool3dPKfPfiiiiiiiii
		.amdhsa_group_segment_fixed_size 0
		.amdhsa_private_segment_fixed_size 0
		.amdhsa_kernarg_size 312
		.amdhsa_user_sgpr_count 2
		.amdhsa_user_sgpr_dispatch_ptr 0
		.amdhsa_user_sgpr_queue_ptr 0
		.amdhsa_user_sgpr_kernarg_segment_ptr 1
		.amdhsa_user_sgpr_dispatch_id 0
		.amdhsa_user_sgpr_kernarg_preload_length 0
		.amdhsa_user_sgpr_kernarg_preload_offset 0
		.amdhsa_user_sgpr_private_segment_size 0
		.amdhsa_wavefront_size32 1
		.amdhsa_uses_dynamic_stack 0
		.amdhsa_enable_private_segment 0
		.amdhsa_system_sgpr_workgroup_id_x 1
		.amdhsa_system_sgpr_workgroup_id_y 1
		.amdhsa_system_sgpr_workgroup_id_z 1
		.amdhsa_system_sgpr_workgroup_info 0
		.amdhsa_system_vgpr_workitem_id 2
		.amdhsa_next_free_vgpr 14
		.amdhsa_next_free_sgpr 21
		.amdhsa_named_barrier_count 0
		.amdhsa_reserve_vcc 1
		.amdhsa_float_round_mode_32 0
		.amdhsa_float_round_mode_16_64 0
		.amdhsa_float_denorm_mode_32 3
		.amdhsa_float_denorm_mode_16_64 3
		.amdhsa_fp16_overflow 0
		.amdhsa_memory_ordered 1
		.amdhsa_forward_progress 1
		.amdhsa_inst_pref_size 7
		.amdhsa_round_robin_scheduling 0
		.amdhsa_exception_fp_ieee_invalid_op 0
		.amdhsa_exception_fp_denorm_src 0
		.amdhsa_exception_fp_ieee_div_zero 0
		.amdhsa_exception_fp_ieee_overflow 0
		.amdhsa_exception_fp_ieee_underflow 0
		.amdhsa_exception_fp_ieee_inexact 0
		.amdhsa_exception_int_div_zero 0
	.end_amdhsa_kernel
	.text
.Lfunc_end0:
	.size	_Z9maxpool3dPKfPfiiiiiiiii, .Lfunc_end0-_Z9maxpool3dPKfPfiiiiiiiii
                                        ; -- End function
	.set _Z9maxpool3dPKfPfiiiiiiiii.num_vgpr, 14
	.set _Z9maxpool3dPKfPfiiiiiiiii.num_agpr, 0
	.set _Z9maxpool3dPKfPfiiiiiiiii.numbered_sgpr, 21
	.set _Z9maxpool3dPKfPfiiiiiiiii.num_named_barrier, 0
	.set _Z9maxpool3dPKfPfiiiiiiiii.private_seg_size, 0
	.set _Z9maxpool3dPKfPfiiiiiiiii.uses_vcc, 1
	.set _Z9maxpool3dPKfPfiiiiiiiii.uses_flat_scratch, 0
	.set _Z9maxpool3dPKfPfiiiiiiiii.has_dyn_sized_stack, 0
	.set _Z9maxpool3dPKfPfiiiiiiiii.has_recursion, 0
	.set _Z9maxpool3dPKfPfiiiiiiiii.has_indirect_call, 0
	.section	.AMDGPU.csdata,"",@progbits
; Kernel info:
; codeLenInByte = 860
; TotalNumSgprs: 23
; NumVgprs: 14
; ScratchSize: 0
; MemoryBound: 0
; FloatMode: 240
; IeeeMode: 1
; LDSByteSize: 0 bytes/workgroup (compile time only)
; SGPRBlocks: 0
; VGPRBlocks: 0
; NumSGPRsForWavesPerEU: 23
; NumVGPRsForWavesPerEU: 14
; NamedBarCnt: 0
; Occupancy: 16
; WaveLimiterHint : 0
; COMPUTE_PGM_RSRC2:SCRATCH_EN: 0
; COMPUTE_PGM_RSRC2:USER_SGPR: 2
; COMPUTE_PGM_RSRC2:TRAP_HANDLER: 0
; COMPUTE_PGM_RSRC2:TGID_X_EN: 1
; COMPUTE_PGM_RSRC2:TGID_Y_EN: 1
; COMPUTE_PGM_RSRC2:TGID_Z_EN: 1
; COMPUTE_PGM_RSRC2:TIDIG_COMP_CNT: 2
	.text
	.p2alignl 7, 3214868480
	.fill 96, 4, 3214868480
	.section	.AMDGPU.gpr_maximums,"",@progbits
	.set amdgpu.max_num_vgpr, 0
	.set amdgpu.max_num_agpr, 0
	.set amdgpu.max_num_sgpr, 0
	.text
	.type	__hip_cuid_17e0fe3443365b3b,@object ; @__hip_cuid_17e0fe3443365b3b
	.section	.bss,"aw",@nobits
	.globl	__hip_cuid_17e0fe3443365b3b
__hip_cuid_17e0fe3443365b3b:
	.byte	0                               ; 0x0
	.size	__hip_cuid_17e0fe3443365b3b, 1

	.ident	"AMD clang version 22.0.0git (https://github.com/RadeonOpenCompute/llvm-project roc-7.2.4 26084 f58b06dce1f9c15707c5f808fd002e18c2accf7e)"
	.section	".note.GNU-stack","",@progbits
	.addrsig
	.addrsig_sym __hip_cuid_17e0fe3443365b3b
	.amdgpu_metadata
---
amdhsa.kernels:
  - .args:
      - .address_space:  global
        .offset:         0
        .size:           8
        .value_kind:     global_buffer
      - .address_space:  global
        .offset:         8
        .size:           8
        .value_kind:     global_buffer
      - .offset:         16
        .size:           4
        .value_kind:     by_value
      - .offset:         20
        .size:           4
        .value_kind:     by_value
      - .offset:         24
        .size:           4
        .value_kind:     by_value
      - .offset:         28
        .size:           4
        .value_kind:     by_value
      - .offset:         32
        .size:           4
        .value_kind:     by_value
      - .offset:         36
        .size:           4
        .value_kind:     by_value
      - .offset:         40
        .size:           4
        .value_kind:     by_value
      - .offset:         44
        .size:           4
        .value_kind:     by_value
      - .offset:         48
        .size:           4
        .value_kind:     by_value
      - .offset:         56
        .size:           4
        .value_kind:     hidden_block_count_x
      - .offset:         60
        .size:           4
        .value_kind:     hidden_block_count_y
      - .offset:         64
        .size:           4
        .value_kind:     hidden_block_count_z
      - .offset:         68
        .size:           2
        .value_kind:     hidden_group_size_x
      - .offset:         70
        .size:           2
        .value_kind:     hidden_group_size_y
      - .offset:         72
        .size:           2
        .value_kind:     hidden_group_size_z
      - .offset:         74
        .size:           2
        .value_kind:     hidden_remainder_x
      - .offset:         76
        .size:           2
        .value_kind:     hidden_remainder_y
      - .offset:         78
        .size:           2
        .value_kind:     hidden_remainder_z
      - .offset:         96
        .size:           8
        .value_kind:     hidden_global_offset_x
      - .offset:         104
        .size:           8
        .value_kind:     hidden_global_offset_y
      - .offset:         112
        .size:           8
        .value_kind:     hidden_global_offset_z
      - .offset:         120
        .size:           2
        .value_kind:     hidden_grid_dims
    .group_segment_fixed_size: 0
    .kernarg_segment_align: 8
    .kernarg_segment_size: 312
    .language:       OpenCL C
    .language_version:
      - 2
      - 0
    .max_flat_workgroup_size: 1024
    .name:           _Z9maxpool3dPKfPfiiiiiiiii
    .private_segment_fixed_size: 0
    .sgpr_count:     23
    .sgpr_spill_count: 0
    .symbol:         _Z9maxpool3dPKfPfiiiiiiiii.kd
    .uniform_work_group_size: 1
    .uses_dynamic_stack: false
    .vgpr_count:     14
    .vgpr_spill_count: 0
    .wavefront_size: 32
amdhsa.target:   amdgcn-amd-amdhsa--gfx1250
amdhsa.version:
  - 1
  - 2
...

	.end_amdgpu_metadata
